;; amdgpu-corpus repo=ROCm/rocFFT kind=compiled arch=gfx906 opt=O3
	.text
	.amdgcn_target "amdgcn-amd-amdhsa--gfx906"
	.amdhsa_code_object_version 6
	.protected	fft_rtc_back_len250_factors_10_5_5_wgs_125_tpt_25_halfLds_dp_op_CI_CI_unitstride_sbrr_R2C_dirReg ; -- Begin function fft_rtc_back_len250_factors_10_5_5_wgs_125_tpt_25_halfLds_dp_op_CI_CI_unitstride_sbrr_R2C_dirReg
	.globl	fft_rtc_back_len250_factors_10_5_5_wgs_125_tpt_25_halfLds_dp_op_CI_CI_unitstride_sbrr_R2C_dirReg
	.p2align	8
	.type	fft_rtc_back_len250_factors_10_5_5_wgs_125_tpt_25_halfLds_dp_op_CI_CI_unitstride_sbrr_R2C_dirReg,@function
fft_rtc_back_len250_factors_10_5_5_wgs_125_tpt_25_halfLds_dp_op_CI_CI_unitstride_sbrr_R2C_dirReg: ; @fft_rtc_back_len250_factors_10_5_5_wgs_125_tpt_25_halfLds_dp_op_CI_CI_unitstride_sbrr_R2C_dirReg
; %bb.0:
	s_load_dwordx4 s[8:11], s[4:5], 0x58
	s_load_dwordx4 s[12:15], s[4:5], 0x0
	;; [unrolled: 1-line block ×3, first 2 shown]
	v_mul_u32_u24_e32 v1, 0xa3e, v0
	v_lshrrev_b32_e32 v1, 16, v1
	v_mad_u64_u32 v[3:4], s[0:1], s6, 5, v[1:2]
	v_mov_b32_e32 v5, 0
	v_mov_b32_e32 v1, 0
	;; [unrolled: 1-line block ×3, first 2 shown]
	s_waitcnt lgkmcnt(0)
	v_cmp_lt_u64_e64 s[0:1], s[14:15], 2
	v_mov_b32_e32 v2, 0
	v_mov_b32_e32 v21, v2
	;; [unrolled: 1-line block ×3, first 2 shown]
	s_and_b64 vcc, exec, s[0:1]
	v_mov_b32_e32 v20, v1
	v_mov_b32_e32 v22, v3
	s_cbranch_vccnz .LBB0_8
; %bb.1:
	s_load_dwordx2 s[0:1], s[4:5], 0x10
	s_add_u32 s2, s18, 8
	s_addc_u32 s3, s19, 0
	s_add_u32 s6, s16, 8
	v_mov_b32_e32 v1, 0
	s_addc_u32 s7, s17, 0
	v_mov_b32_e32 v2, 0
	s_waitcnt lgkmcnt(0)
	s_add_u32 s20, s0, 8
	v_mov_b32_e32 v21, v2
	v_mov_b32_e32 v8, v4
	s_addc_u32 s21, s1, 0
	s_mov_b64 s[22:23], 1
	v_mov_b32_e32 v20, v1
	v_mov_b32_e32 v7, v3
.LBB0_2:                                ; =>This Inner Loop Header: Depth=1
	s_load_dwordx2 s[24:25], s[20:21], 0x0
                                        ; implicit-def: $vgpr22_vgpr23
	s_waitcnt lgkmcnt(0)
	v_or_b32_e32 v6, s25, v8
	v_cmp_ne_u64_e32 vcc, 0, v[5:6]
	s_and_saveexec_b64 s[0:1], vcc
	s_xor_b64 s[26:27], exec, s[0:1]
	s_cbranch_execz .LBB0_4
; %bb.3:                                ;   in Loop: Header=BB0_2 Depth=1
	v_cvt_f32_u32_e32 v4, s24
	v_cvt_f32_u32_e32 v6, s25
	s_sub_u32 s0, 0, s24
	s_subb_u32 s1, 0, s25
	v_mac_f32_e32 v4, 0x4f800000, v6
	v_rcp_f32_e32 v4, v4
	v_mul_f32_e32 v4, 0x5f7ffffc, v4
	v_mul_f32_e32 v6, 0x2f800000, v4
	v_trunc_f32_e32 v6, v6
	v_mac_f32_e32 v4, 0xcf800000, v6
	v_cvt_u32_f32_e32 v6, v6
	v_cvt_u32_f32_e32 v4, v4
	v_mul_lo_u32 v9, s0, v6
	v_mul_hi_u32 v10, s0, v4
	v_mul_lo_u32 v12, s1, v4
	v_mul_lo_u32 v11, s0, v4
	v_add_u32_e32 v9, v10, v9
	v_add_u32_e32 v9, v9, v12
	v_mul_hi_u32 v10, v4, v11
	v_mul_lo_u32 v12, v4, v9
	v_mul_hi_u32 v14, v4, v9
	v_mul_hi_u32 v13, v6, v11
	v_mul_lo_u32 v11, v6, v11
	v_mul_hi_u32 v15, v6, v9
	v_add_co_u32_e32 v10, vcc, v10, v12
	v_addc_co_u32_e32 v12, vcc, 0, v14, vcc
	v_mul_lo_u32 v9, v6, v9
	v_add_co_u32_e32 v10, vcc, v10, v11
	v_addc_co_u32_e32 v10, vcc, v12, v13, vcc
	v_addc_co_u32_e32 v11, vcc, 0, v15, vcc
	v_add_co_u32_e32 v9, vcc, v10, v9
	v_addc_co_u32_e32 v10, vcc, 0, v11, vcc
	v_add_co_u32_e32 v4, vcc, v4, v9
	v_addc_co_u32_e32 v6, vcc, v6, v10, vcc
	v_mul_lo_u32 v9, s0, v6
	v_mul_hi_u32 v10, s0, v4
	v_mul_lo_u32 v11, s1, v4
	v_mul_lo_u32 v12, s0, v4
	v_add_u32_e32 v9, v10, v9
	v_add_u32_e32 v9, v9, v11
	v_mul_lo_u32 v13, v4, v9
	v_mul_hi_u32 v14, v4, v12
	v_mul_hi_u32 v15, v4, v9
	;; [unrolled: 1-line block ×3, first 2 shown]
	v_mul_lo_u32 v12, v6, v12
	v_mul_hi_u32 v10, v6, v9
	v_add_co_u32_e32 v13, vcc, v14, v13
	v_addc_co_u32_e32 v14, vcc, 0, v15, vcc
	v_mul_lo_u32 v9, v6, v9
	v_add_co_u32_e32 v12, vcc, v13, v12
	v_addc_co_u32_e32 v11, vcc, v14, v11, vcc
	v_addc_co_u32_e32 v10, vcc, 0, v10, vcc
	v_add_co_u32_e32 v9, vcc, v11, v9
	v_addc_co_u32_e32 v10, vcc, 0, v10, vcc
	v_add_co_u32_e32 v4, vcc, v4, v9
	v_addc_co_u32_e32 v6, vcc, v6, v10, vcc
	v_mad_u64_u32 v[9:10], s[0:1], v7, v6, 0
	v_mul_hi_u32 v11, v7, v4
	v_add_co_u32_e32 v13, vcc, v11, v9
	v_addc_co_u32_e32 v14, vcc, 0, v10, vcc
	v_mad_u64_u32 v[9:10], s[0:1], v8, v4, 0
	v_mad_u64_u32 v[11:12], s[0:1], v8, v6, 0
	v_add_co_u32_e32 v4, vcc, v13, v9
	v_addc_co_u32_e32 v4, vcc, v14, v10, vcc
	v_addc_co_u32_e32 v6, vcc, 0, v12, vcc
	v_add_co_u32_e32 v4, vcc, v4, v11
	v_addc_co_u32_e32 v6, vcc, 0, v6, vcc
	v_mul_lo_u32 v11, s25, v4
	v_mul_lo_u32 v12, s24, v6
	v_mad_u64_u32 v[9:10], s[0:1], s24, v4, 0
	v_add3_u32 v10, v10, v12, v11
	v_sub_u32_e32 v11, v8, v10
	v_mov_b32_e32 v12, s25
	v_sub_co_u32_e32 v9, vcc, v7, v9
	v_subb_co_u32_e64 v11, s[0:1], v11, v12, vcc
	v_subrev_co_u32_e64 v12, s[0:1], s24, v9
	v_subbrev_co_u32_e64 v11, s[0:1], 0, v11, s[0:1]
	v_cmp_le_u32_e64 s[0:1], s25, v11
	v_cndmask_b32_e64 v13, 0, -1, s[0:1]
	v_cmp_le_u32_e64 s[0:1], s24, v12
	v_cndmask_b32_e64 v12, 0, -1, s[0:1]
	v_cmp_eq_u32_e64 s[0:1], s25, v11
	v_cndmask_b32_e64 v11, v13, v12, s[0:1]
	v_add_co_u32_e64 v12, s[0:1], 2, v4
	v_addc_co_u32_e64 v13, s[0:1], 0, v6, s[0:1]
	v_add_co_u32_e64 v14, s[0:1], 1, v4
	v_addc_co_u32_e64 v15, s[0:1], 0, v6, s[0:1]
	v_subb_co_u32_e32 v10, vcc, v8, v10, vcc
	v_cmp_ne_u32_e64 s[0:1], 0, v11
	v_cmp_le_u32_e32 vcc, s25, v10
	v_cndmask_b32_e64 v11, v15, v13, s[0:1]
	v_cndmask_b32_e64 v13, 0, -1, vcc
	v_cmp_le_u32_e32 vcc, s24, v9
	v_cndmask_b32_e64 v9, 0, -1, vcc
	v_cmp_eq_u32_e32 vcc, s25, v10
	v_cndmask_b32_e32 v9, v13, v9, vcc
	v_cmp_ne_u32_e32 vcc, 0, v9
	v_cndmask_b32_e32 v23, v6, v11, vcc
	v_cndmask_b32_e64 v6, v14, v12, s[0:1]
	v_cndmask_b32_e32 v22, v4, v6, vcc
.LBB0_4:                                ;   in Loop: Header=BB0_2 Depth=1
	s_andn2_saveexec_b64 s[0:1], s[26:27]
	s_cbranch_execz .LBB0_6
; %bb.5:                                ;   in Loop: Header=BB0_2 Depth=1
	v_cvt_f32_u32_e32 v4, s24
	s_sub_i32 s26, 0, s24
	v_mov_b32_e32 v23, v5
	v_rcp_iflag_f32_e32 v4, v4
	v_mul_f32_e32 v4, 0x4f7ffffe, v4
	v_cvt_u32_f32_e32 v4, v4
	v_mul_lo_u32 v6, s26, v4
	v_mul_hi_u32 v6, v4, v6
	v_add_u32_e32 v4, v4, v6
	v_mul_hi_u32 v4, v7, v4
	v_mul_lo_u32 v6, v4, s24
	v_add_u32_e32 v9, 1, v4
	v_sub_u32_e32 v6, v7, v6
	v_subrev_u32_e32 v10, s24, v6
	v_cmp_le_u32_e32 vcc, s24, v6
	v_cndmask_b32_e32 v6, v6, v10, vcc
	v_cndmask_b32_e32 v4, v4, v9, vcc
	v_add_u32_e32 v9, 1, v4
	v_cmp_le_u32_e32 vcc, s24, v6
	v_cndmask_b32_e32 v22, v4, v9, vcc
.LBB0_6:                                ;   in Loop: Header=BB0_2 Depth=1
	s_or_b64 exec, exec, s[0:1]
	v_mul_lo_u32 v4, v23, s24
	v_mul_lo_u32 v6, v22, s25
	v_mad_u64_u32 v[9:10], s[0:1], v22, s24, 0
	s_load_dwordx2 s[0:1], s[6:7], 0x0
	s_load_dwordx2 s[24:25], s[2:3], 0x0
	v_add3_u32 v4, v10, v6, v4
	v_sub_co_u32_e32 v6, vcc, v7, v9
	v_subb_co_u32_e32 v4, vcc, v8, v4, vcc
	s_waitcnt lgkmcnt(0)
	v_mul_lo_u32 v7, s0, v4
	v_mul_lo_u32 v8, s1, v6
	v_mad_u64_u32 v[1:2], s[0:1], s0, v6, v[1:2]
	s_add_u32 s22, s22, 1
	s_addc_u32 s23, s23, 0
	s_add_u32 s2, s2, 8
	v_mul_lo_u32 v4, s24, v4
	v_mul_lo_u32 v9, s25, v6
	v_mad_u64_u32 v[20:21], s[0:1], s24, v6, v[20:21]
	v_add3_u32 v2, v8, v2, v7
	s_addc_u32 s3, s3, 0
	v_mov_b32_e32 v6, s14
	s_add_u32 s6, s6, 8
	v_mov_b32_e32 v7, s15
	s_addc_u32 s7, s7, 0
	v_cmp_ge_u64_e32 vcc, s[22:23], v[6:7]
	s_add_u32 s20, s20, 8
	v_add3_u32 v21, v9, v21, v4
	s_addc_u32 s21, s21, 0
	s_cbranch_vccnz .LBB0_8
; %bb.7:                                ;   in Loop: Header=BB0_2 Depth=1
	v_mov_b32_e32 v7, v22
	v_mov_b32_e32 v8, v23
	s_branch .LBB0_2
.LBB0_8:
	s_mov_b32 s2, 0xcccccccd
	s_load_dwordx2 s[0:1], s[4:5], 0x28
	v_mul_hi_u32 v4, v3, s2
	s_lshl_b64 s[6:7], s[14:15], 3
	s_add_u32 s2, s18, s6
	s_addc_u32 s3, s19, s7
	v_lshrrev_b32_e32 v4, 2, v4
	v_lshl_add_u32 v4, v4, 2, v4
	s_waitcnt lgkmcnt(0)
	v_cmp_gt_u64_e32 vcc, s[0:1], v[22:23]
	v_cmp_le_u64_e64 s[0:1], s[0:1], v[22:23]
	v_sub_u32_e32 v3, v3, v4
                                        ; implicit-def: $vgpr24
                                        ; implicit-def: $vgpr26
	s_and_saveexec_b64 s[4:5], s[0:1]
	s_xor_b64 s[0:1], exec, s[4:5]
; %bb.9:
	s_mov_b32 s4, 0xa3d70a4
	v_mul_hi_u32 v1, v0, s4
	v_mul_u32_u24_e32 v1, 25, v1
	v_sub_u32_e32 v24, v0, v1
	v_add_u32_e32 v26, 25, v24
                                        ; implicit-def: $vgpr0
                                        ; implicit-def: $vgpr1_vgpr2
; %bb.10:
	s_or_saveexec_b64 s[4:5], s[0:1]
	v_mul_u32_u24_e32 v3, 0xfb, v3
	v_lshlrev_b32_e32 v40, 4, v3
	s_xor_b64 exec, exec, s[4:5]
	s_cbranch_execz .LBB0_12
; %bb.11:
	s_add_u32 s0, s16, s6
	s_addc_u32 s1, s17, s7
	s_load_dwordx2 s[0:1], s[0:1], 0x0
	s_mov_b32 s6, 0xa3d70a4
	v_mul_hi_u32 v5, v0, s6
	s_waitcnt lgkmcnt(0)
	v_mul_lo_u32 v6, s1, v22
	v_mul_lo_u32 v7, s0, v23
	v_mad_u64_u32 v[3:4], s[0:1], s0, v22, 0
	v_mul_u32_u24_e32 v5, 25, v5
	v_sub_u32_e32 v24, v0, v5
	v_add3_u32 v4, v4, v7, v6
	v_lshlrev_b64 v[3:4], 4, v[3:4]
	v_mov_b32_e32 v0, s9
	v_add_co_u32_e64 v3, s[0:1], s8, v3
	v_addc_co_u32_e64 v4, s[0:1], v0, v4, s[0:1]
	v_lshlrev_b64 v[0:1], 4, v[1:2]
	v_lshlrev_b32_e32 v39, 4, v24
	v_add_co_u32_e64 v0, s[0:1], v3, v0
	v_addc_co_u32_e64 v1, s[0:1], v4, v1, s[0:1]
	v_add_co_u32_e64 v25, s[0:1], v0, v39
	v_addc_co_u32_e64 v26, s[0:1], 0, v1, s[0:1]
	global_load_dwordx4 v[0:3], v[25:26], off
	global_load_dwordx4 v[4:7], v[25:26], off offset:400
	global_load_dwordx4 v[8:11], v[25:26], off offset:800
	global_load_dwordx4 v[12:15], v[25:26], off offset:1200
	global_load_dwordx4 v[16:19], v[25:26], off offset:1600
	global_load_dwordx4 v[27:30], v[25:26], off offset:2000
	global_load_dwordx4 v[31:34], v[25:26], off offset:2400
	global_load_dwordx4 v[35:38], v[25:26], off offset:2800
	global_load_dwordx4 v[41:44], v[25:26], off offset:3200
	global_load_dwordx4 v[45:48], v[25:26], off offset:3600
	v_add_u32_e32 v26, 25, v24
	v_add3_u32 v25, 0, v40, v39
	s_waitcnt vmcnt(9)
	ds_write_b128 v25, v[0:3]
	s_waitcnt vmcnt(8)
	ds_write_b128 v25, v[4:7] offset:400
	s_waitcnt vmcnt(7)
	ds_write_b128 v25, v[8:11] offset:800
	;; [unrolled: 2-line block ×9, first 2 shown]
.LBB0_12:
	s_or_b64 exec, exec, s[4:5]
	v_lshlrev_b32_e32 v25, 4, v24
	v_add_u32_e32 v37, 0, v40
	v_add3_u32 v39, 0, v25, v40
	s_load_dwordx2 s[2:3], s[2:3], 0x0
	s_waitcnt lgkmcnt(0)
	s_barrier
	v_add_u32_e32 v38, v37, v25
	ds_read_b128 v[41:44], v39 offset:800
	ds_read_b128 v[45:48], v38
	ds_read_b128 v[16:19], v39 offset:400
	ds_read_b128 v[8:11], v39 offset:1200
	;; [unrolled: 1-line block ×6, first 2 shown]
	s_mov_b32 s8, 0x134454ff
	s_waitcnt lgkmcnt(6)
	v_add_f64 v[0:1], v[45:46], v[41:42]
	s_waitcnt lgkmcnt(2)
	v_add_f64 v[27:28], v[53:54], v[49:50]
	v_add_f64 v[61:62], v[41:42], -v[53:54]
	s_mov_b32 s9, 0xbfee6f0e
	s_mov_b32 s7, 0x3fee6f0e
	;; [unrolled: 1-line block ×5, first 2 shown]
	v_add_f64 v[29:30], v[0:1], v[53:54]
	ds_read_b128 v[57:60], v39 offset:3200
	ds_read_b128 v[0:3], v39 offset:3600
	v_fma_f64 v[31:32], v[27:28], -0.5, v[45:46]
	s_mov_b32 s17, 0x3fe2cf23
	s_mov_b32 s16, s4
	s_waitcnt lgkmcnt(1)
	v_add_f64 v[35:36], v[43:44], -v[59:60]
	v_add_f64 v[33:34], v[41:42], v[57:58]
	v_add_f64 v[63:64], v[57:58], -v[49:50]
	v_add_f64 v[27:28], v[29:30], v[49:50]
	v_add_f64 v[29:30], v[55:56], -v[51:52]
	v_add_f64 v[67:68], v[53:54], -v[41:42]
	;; [unrolled: 1-line block ×4, first 2 shown]
	v_fma_f64 v[65:66], v[35:36], s[8:9], v[31:32]
	v_fma_f64 v[31:32], v[35:36], s[6:7], v[31:32]
	v_fma_f64 v[45:46], v[33:34], -0.5, v[45:46]
	v_add_f64 v[61:62], v[61:62], v[63:64]
	v_add_f64 v[63:64], v[55:56], v[51:52]
	s_mov_b32 s14, 0x372fe950
	s_mov_b32 s15, 0x3fd3c6ef
	v_add_f64 v[27:28], v[27:28], v[57:58]
	v_fma_f64 v[33:34], v[29:30], s[4:5], v[65:66]
	v_fma_f64 v[31:32], v[29:30], s[16:17], v[31:32]
	;; [unrolled: 1-line block ×3, first 2 shown]
	v_add_f64 v[71:72], v[47:48], v[43:44]
	v_fma_f64 v[63:64], v[63:64], -0.5, v[47:48]
	v_fma_f64 v[29:30], v[29:30], s[8:9], v[45:46]
	v_add_f64 v[49:50], v[53:54], -v[49:50]
	v_add_f64 v[53:54], v[43:44], -v[55:56]
	v_fma_f64 v[33:34], v[61:62], s[14:15], v[33:34]
	v_fma_f64 v[31:32], v[61:62], s[14:15], v[31:32]
	;; [unrolled: 1-line block ×3, first 2 shown]
	v_add_f64 v[61:62], v[67:68], v[69:70]
	v_fma_f64 v[65:66], v[41:42], s[6:7], v[63:64]
	v_add_f64 v[67:68], v[59:60], -v[51:52]
	v_fma_f64 v[63:64], v[41:42], s[8:9], v[63:64]
	v_add_f64 v[69:70], v[43:44], v[59:60]
	v_add_f64 v[45:46], v[71:72], v[55:56]
	v_fma_f64 v[29:30], v[35:36], s[16:17], v[29:30]
	v_add_f64 v[43:44], v[55:56], -v[43:44]
	v_fma_f64 v[35:36], v[61:62], s[14:15], v[57:58]
	v_add_f64 v[57:58], v[12:13], v[4:5]
	v_fma_f64 v[65:66], v[49:50], s[16:17], v[65:66]
	v_add_f64 v[53:54], v[53:54], v[67:68]
	v_fma_f64 v[63:64], v[49:50], s[4:5], v[63:64]
	v_fma_f64 v[47:48], v[69:70], -0.5, v[47:48]
	v_add_f64 v[45:46], v[45:46], v[51:52]
	s_waitcnt lgkmcnt(0)
	v_add_f64 v[69:70], v[10:11], -v[2:3]
	v_fma_f64 v[61:62], v[61:62], s[14:15], v[29:30]
	v_fma_f64 v[57:58], v[57:58], -0.5, v[16:17]
	v_add_f64 v[51:52], v[51:52], -v[59:60]
	v_fma_f64 v[65:66], v[53:54], s[14:15], v[65:66]
	v_fma_f64 v[29:30], v[53:54], s[14:15], v[63:64]
	;; [unrolled: 1-line block ×4, first 2 shown]
	v_add_f64 v[67:68], v[45:46], v[59:60]
	v_add_f64 v[45:46], v[16:17], v[8:9]
	v_fma_f64 v[49:50], v[69:70], s[8:9], v[57:58]
	v_add_f64 v[55:56], v[14:15], -v[6:7]
	v_add_f64 v[59:60], v[8:9], -v[12:13]
	;; [unrolled: 1-line block ×3, first 2 shown]
	v_add_f64 v[73:74], v[14:15], v[6:7]
	v_fma_f64 v[53:54], v[41:42], s[16:17], v[53:54]
	v_add_f64 v[43:44], v[43:44], v[51:52]
	v_fma_f64 v[41:42], v[41:42], s[4:5], v[47:48]
	v_add_f64 v[45:46], v[45:46], v[12:13]
	v_add_f64 v[71:72], v[8:9], v[0:1]
	v_fma_f64 v[47:48], v[55:56], s[4:5], v[49:50]
	v_add_f64 v[49:50], v[59:60], v[63:64]
	v_fma_f64 v[51:52], v[69:70], s[6:7], v[57:58]
	v_fma_f64 v[57:58], v[73:74], -0.5, v[18:19]
	v_add_f64 v[59:60], v[8:9], -v[0:1]
	v_fma_f64 v[53:54], v[43:44], s[14:15], v[53:54]
	v_fma_f64 v[63:64], v[43:44], s[14:15], v[41:42]
	v_add_f64 v[43:44], v[10:11], v[2:3]
	v_add_f64 v[45:46], v[45:46], v[4:5]
	v_fma_f64 v[16:17], v[71:72], -0.5, v[16:17]
	v_add_f64 v[73:74], v[12:13], -v[4:5]
	v_add_f64 v[75:76], v[10:11], -v[14:15]
	v_fma_f64 v[71:72], v[59:60], s[6:7], v[57:58]
	v_add_f64 v[77:78], v[2:3], -v[6:7]
	v_add_f64 v[8:9], v[12:13], -v[8:9]
	v_fma_f64 v[43:44], v[43:44], -0.5, v[18:19]
	v_add_f64 v[12:13], v[18:19], v[10:11]
	v_add_f64 v[41:42], v[45:46], v[0:1]
	v_fma_f64 v[45:46], v[55:56], s[6:7], v[16:17]
	v_fma_f64 v[16:17], v[55:56], s[8:9], v[16:17]
	v_add_f64 v[0:1], v[4:5], -v[0:1]
	v_fma_f64 v[4:5], v[73:74], s[16:17], v[71:72]
	v_add_f64 v[18:19], v[75:76], v[77:78]
	v_fma_f64 v[51:52], v[55:56], s[16:17], v[51:52]
	v_fma_f64 v[55:56], v[73:74], s[8:9], v[43:44]
	v_add_f64 v[10:11], v[14:15], -v[10:11]
	v_add_f64 v[71:72], v[6:7], -v[2:3]
	v_fma_f64 v[43:44], v[73:74], s[6:7], v[43:44]
	v_add_f64 v[12:13], v[12:13], v[14:15]
	v_fma_f64 v[14:15], v[59:60], s[8:9], v[57:58]
	v_add_f64 v[0:1], v[8:9], v[0:1]
	v_fma_f64 v[8:9], v[69:70], s[16:17], v[16:17]
	v_fma_f64 v[16:17], v[18:19], s[14:15], v[4:5]
	;; [unrolled: 1-line block ×3, first 2 shown]
	v_add_f64 v[10:11], v[10:11], v[71:72]
	v_fma_f64 v[43:44], v[59:60], s[4:5], v[43:44]
	v_add_f64 v[6:7], v[12:13], v[6:7]
	v_fma_f64 v[12:13], v[73:74], s[4:5], v[14:15]
	v_fma_f64 v[47:48], v[49:50], s[14:15], v[47:48]
	;; [unrolled: 1-line block ×3, first 2 shown]
	v_mul_f64 v[49:50], v[16:17], s[4:5]
	v_fma_f64 v[45:46], v[69:70], s[4:5], v[45:46]
	v_fma_f64 v[4:5], v[10:11], s[14:15], v[4:5]
	;; [unrolled: 1-line block ×3, first 2 shown]
	v_add_f64 v[43:44], v[6:7], v[2:3]
	v_fma_f64 v[2:3], v[18:19], s[14:15], v[12:13]
	s_mov_b32 s0, 0x9b97f4a8
	s_mov_b32 s1, 0x3fe9e377
	v_fma_f64 v[49:50], v[47:48], s[0:1], v[49:50]
	v_mul_f64 v[47:48], v[47:48], s[16:17]
	v_fma_f64 v[45:46], v[0:1], s[14:15], v[45:46]
	v_mul_f64 v[6:7], v[4:5], s[8:9]
	s_mov_b32 s19, 0xbfd3c6ef
	s_mov_b32 s18, s14
	v_mul_f64 v[51:52], v[4:5], s[14:15]
	v_fma_f64 v[8:9], v[0:1], s[14:15], v[8:9]
	v_mul_f64 v[12:13], v[10:11], s[8:9]
	s_mov_b32 s21, 0xbfe9e377
	s_mov_b32 s20, s0
	v_mul_f64 v[10:11], v[10:11], s[18:19]
	v_mul_f64 v[18:19], v[2:3], s[4:5]
	;; [unrolled: 1-line block ×3, first 2 shown]
	v_fma_f64 v[47:48], v[16:17], s[0:1], v[47:48]
	v_fma_f64 v[55:56], v[45:46], s[14:15], v[6:7]
	v_fma_f64 v[51:52], v[45:46], s[6:7], v[51:52]
	v_fma_f64 v[57:58], v[8:9], s[18:19], v[12:13]
	v_add_f64 v[0:1], v[27:28], v[41:42]
	v_fma_f64 v[69:70], v[8:9], s[6:7], v[10:11]
	v_fma_f64 v[59:60], v[14:15], s[20:21], v[18:19]
	;; [unrolled: 1-line block ×3, first 2 shown]
	v_add_f64 v[2:3], v[67:68], v[43:44]
	v_add_f64 v[4:5], v[33:34], v[49:50]
	v_add_f64 v[6:7], v[65:66], v[47:48]
	v_add_f64 v[8:9], v[35:36], v[55:56]
	v_add_f64 v[10:11], v[53:54], v[51:52]
	v_add_f64 v[12:13], v[61:62], v[57:58]
	v_add_f64 v[14:15], v[63:64], v[69:70]
	v_add_f64 v[16:17], v[31:32], v[59:60]
	v_add_f64 v[18:19], v[29:30], v[71:72]
	v_add_f64 v[41:42], v[27:28], -v[41:42]
	v_add_f64 v[43:44], v[67:68], -v[43:44]
	;; [unrolled: 1-line block ×5, first 2 shown]
	s_movk_i32 s0, 0x90
	v_add_f64 v[27:28], v[31:32], -v[59:60]
	v_add_f64 v[47:48], v[53:54], -v[51:52]
	v_mad_u32_u24 v31, v24, s0, v39
	s_movk_i32 s0, 0xcd
	v_add_f64 v[49:50], v[61:62], -v[57:58]
	v_add_f64 v[51:52], v[63:64], -v[69:70]
	;; [unrolled: 1-line block ×3, first 2 shown]
	s_barrier
	ds_write_b128 v31, v[0:3]
	ds_write_b128 v31, v[4:7] offset:16
	ds_write_b128 v31, v[8:11] offset:32
	ds_write_b128 v31, v[12:15] offset:48
	ds_write_b128 v31, v[16:19] offset:64
	ds_write_b128 v31, v[41:44] offset:80
	ds_write_b128 v31, v[33:36] offset:96
	ds_write_b128 v31, v[45:48] offset:112
	ds_write_b128 v31, v[49:52] offset:128
	ds_write_b128 v31, v[27:30] offset:144
	v_mul_lo_u16_sdwa v0, v24, s0 dst_sel:DWORD dst_unused:UNUSED_PAD src0_sel:BYTE_0 src1_sel:DWORD
	v_lshrrev_b16_e32 v0, 11, v0
	v_mul_lo_u16_e32 v1, 10, v0
	v_sub_u16_e32 v1, v24, v1
	v_mov_b32_e32 v27, 6
	v_lshlrev_b32_sdwa v2, v27, v1 dst_sel:DWORD dst_unused:UNUSED_PAD src0_sel:DWORD src1_sel:BYTE_0
	s_waitcnt lgkmcnt(0)
	s_barrier
	global_load_dwordx4 v[4:7], v2, s[12:13]
	global_load_dwordx4 v[8:11], v2, s[12:13] offset:16
	global_load_dwordx4 v[12:15], v2, s[12:13] offset:32
	;; [unrolled: 1-line block ×3, first 2 shown]
	v_mul_lo_u16_sdwa v2, v26, s0 dst_sel:DWORD dst_unused:UNUSED_PAD src0_sel:BYTE_0 src1_sel:DWORD
	v_lshrrev_b16_e32 v3, 11, v2
	v_mul_lo_u16_e32 v2, 10, v3
	v_sub_u16_e32 v2, v26, v2
	v_lshlrev_b32_sdwa v35, v27, v2 dst_sel:DWORD dst_unused:UNUSED_PAD src0_sel:DWORD src1_sel:BYTE_0
	global_load_dwordx4 v[27:30], v35, s[12:13]
	global_load_dwordx4 v[31:34], v35, s[12:13] offset:16
	global_load_dwordx4 v[41:44], v35, s[12:13] offset:32
	;; [unrolled: 1-line block ×3, first 2 shown]
	ds_read_b128 v[49:52], v39 offset:800
	ds_read_b128 v[53:56], v39 offset:1600
	;; [unrolled: 1-line block ×5, first 2 shown]
	s_movk_i32 s0, 0x320
	v_mad_u32_u24 v0, v0, s0, 0
	s_waitcnt vmcnt(7) lgkmcnt(4)
	v_mul_f64 v[35:36], v[51:52], v[6:7]
	v_mul_f64 v[6:7], v[49:50], v[6:7]
	s_waitcnt vmcnt(6) lgkmcnt(3)
	v_mul_f64 v[69:70], v[55:56], v[10:11]
	s_waitcnt vmcnt(5) lgkmcnt(1)
	v_mul_f64 v[73:74], v[63:64], v[14:15]
	v_mul_f64 v[10:11], v[53:54], v[10:11]
	v_fma_f64 v[35:36], v[49:50], v[4:5], v[35:36]
	v_fma_f64 v[71:72], v[51:52], v[4:5], -v[6:7]
	ds_read_b128 v[4:7], v39 offset:3200
	ds_read_b128 v[49:52], v39 offset:2800
	v_fma_f64 v[69:70], v[53:54], v[8:9], v[69:70]
	v_mul_f64 v[53:54], v[61:62], v[14:15]
	v_fma_f64 v[61:62], v[61:62], v[12:13], v[73:74]
	s_waitcnt vmcnt(4) lgkmcnt(1)
	v_mul_f64 v[77:78], v[6:7], v[18:19]
	v_mul_f64 v[18:19], v[4:5], v[18:19]
	s_waitcnt vmcnt(3)
	v_mul_f64 v[73:74], v[59:60], v[29:30]
	v_fma_f64 v[75:76], v[55:56], v[8:9], -v[10:11]
	ds_read_b128 v[8:11], v38
	v_lshl_add_u32 v14, v26, 4, v37
	v_fma_f64 v[12:13], v[63:64], v[12:13], -v[53:54]
	ds_read_b128 v[53:56], v39 offset:3600
	v_fma_f64 v[63:64], v[4:5], v[16:17], v[77:78]
	v_mul_f64 v[4:5], v[57:58], v[29:30]
	v_fma_f64 v[17:18], v[6:7], v[16:17], -v[18:19]
	v_add_f64 v[6:7], v[69:70], v[61:62]
	v_fma_f64 v[57:58], v[57:58], v[27:28], v[73:74]
	s_waitcnt vmcnt(2)
	v_mul_f64 v[15:16], v[67:68], v[33:34]
	v_mul_f64 v[29:30], v[65:66], v[33:34]
	s_waitcnt vmcnt(1) lgkmcnt(2)
	v_mul_f64 v[33:34], v[51:52], v[43:44]
	v_mul_f64 v[43:44], v[49:50], v[43:44]
	v_fma_f64 v[59:60], v[59:60], v[27:28], -v[4:5]
	s_waitcnt lgkmcnt(1)
	v_add_f64 v[4:5], v[8:9], v[35:36]
	v_fma_f64 v[27:28], v[6:7], -0.5, v[8:9]
	v_add_f64 v[73:74], v[71:72], -v[17:18]
	v_fma_f64 v[65:66], v[65:66], v[31:32], v[15:16]
	v_fma_f64 v[67:68], v[67:68], v[31:32], -v[29:30]
	v_fma_f64 v[49:50], v[49:50], v[41:42], v[33:34]
	v_fma_f64 v[51:52], v[51:52], v[41:42], -v[43:44]
	v_add_f64 v[41:42], v[75:76], -v[12:13]
	v_add_f64 v[31:32], v[4:5], v[69:70]
	ds_read_b128 v[4:7], v14
	s_waitcnt vmcnt(0) lgkmcnt(1)
	v_mul_f64 v[15:16], v[55:56], v[47:48]
	v_mul_f64 v[29:30], v[53:54], v[47:48]
	v_fma_f64 v[33:34], v[73:74], s[8:9], v[27:28]
	v_add_f64 v[43:44], v[35:36], v[63:64]
	v_add_f64 v[47:48], v[35:36], -v[69:70]
	v_add_f64 v[77:78], v[63:64], -v[61:62]
	v_fma_f64 v[27:28], v[73:74], s[6:7], v[27:28]
	s_waitcnt lgkmcnt(0)
	v_fma_f64 v[53:54], v[53:54], v[45:46], v[15:16]
	v_fma_f64 v[55:56], v[55:56], v[45:46], -v[29:30]
	v_add_f64 v[15:16], v[31:32], v[61:62]
	v_fma_f64 v[29:30], v[41:42], s[4:5], v[33:34]
	v_fma_f64 v[31:32], v[43:44], -0.5, v[8:9]
	v_add_f64 v[33:34], v[10:11], v[71:72]
	v_add_f64 v[43:44], v[75:76], v[12:13]
	;; [unrolled: 1-line block ×3, first 2 shown]
	v_add_f64 v[47:48], v[69:70], -v[35:36]
	v_add_f64 v[77:78], v[61:62], -v[63:64]
	v_add_f64 v[8:9], v[15:16], v[63:64]
	v_add_f64 v[35:36], v[35:36], -v[63:64]
	v_fma_f64 v[79:80], v[41:42], s[6:7], v[31:32]
	v_add_f64 v[33:34], v[33:34], v[75:76]
	v_fma_f64 v[43:44], v[43:44], -0.5, v[10:11]
	v_fma_f64 v[15:16], v[45:46], s[14:15], v[29:30]
	v_fma_f64 v[27:28], v[41:42], s[16:17], v[27:28]
	v_add_f64 v[29:30], v[47:48], v[77:78]
	v_add_f64 v[47:48], v[71:72], v[17:18]
	v_fma_f64 v[41:42], v[41:42], s[8:9], v[31:32]
	v_fma_f64 v[63:64], v[73:74], s[4:5], v[79:80]
	v_add_f64 v[33:34], v[33:34], v[12:13]
	v_fma_f64 v[77:78], v[35:36], s[6:7], v[43:44]
	v_add_f64 v[61:62], v[69:70], -v[61:62]
	v_add_f64 v[69:70], v[71:72], -v[75:76]
	;; [unrolled: 1-line block ×3, first 2 shown]
	v_fma_f64 v[47:48], v[47:48], -0.5, v[10:11]
	v_fma_f64 v[27:28], v[45:46], s[14:15], v[27:28]
	v_add_f64 v[45:46], v[4:5], v[57:58]
	v_fma_f64 v[31:32], v[29:30], s[14:15], v[63:64]
	v_fma_f64 v[41:42], v[73:74], s[16:17], v[41:42]
	v_add_f64 v[10:11], v[33:34], v[17:18]
	v_fma_f64 v[33:34], v[61:62], s[16:17], v[77:78]
	v_add_f64 v[63:64], v[65:66], v[49:50]
	v_add_f64 v[69:70], v[69:70], v[79:80]
	v_fma_f64 v[43:44], v[35:36], s[8:9], v[43:44]
	v_fma_f64 v[73:74], v[61:62], s[8:9], v[47:48]
	;; [unrolled: 1-line block ×3, first 2 shown]
	v_add_f64 v[45:46], v[45:46], v[65:66]
	v_add_f64 v[71:72], v[75:76], -v[71:72]
	v_add_f64 v[12:13], v[12:13], -v[17:18]
	v_fma_f64 v[63:64], v[63:64], -0.5, v[4:5]
	v_add_f64 v[75:76], v[59:60], -v[55:56]
	v_fma_f64 v[17:18], v[69:70], s[14:15], v[33:34]
	v_fma_f64 v[33:34], v[61:62], s[4:5], v[43:44]
	;; [unrolled: 1-line block ×4, first 2 shown]
	v_add_f64 v[47:48], v[57:58], v[53:54]
	v_add_f64 v[45:46], v[45:46], v[49:50]
	;; [unrolled: 1-line block ×3, first 2 shown]
	v_add_f64 v[73:74], v[57:58], -v[65:66]
	v_add_f64 v[77:78], v[53:54], -v[49:50]
	v_fma_f64 v[61:62], v[75:76], s[8:9], v[63:64]
	v_add_f64 v[71:72], v[67:68], -v[51:52]
	v_fma_f64 v[41:42], v[29:30], s[14:15], v[41:42]
	v_fma_f64 v[47:48], v[47:48], -0.5, v[4:5]
	v_add_f64 v[4:5], v[45:46], v[53:54]
	v_add_f64 v[45:46], v[67:68], v[51:52]
	v_fma_f64 v[29:30], v[69:70], s[14:15], v[33:34]
	v_fma_f64 v[33:34], v[12:13], s[14:15], v[43:44]
	v_fma_f64 v[43:44], v[12:13], s[14:15], v[35:36]
	v_add_f64 v[35:36], v[73:74], v[77:78]
	v_add_f64 v[77:78], v[59:60], v[55:56]
	v_add_f64 v[69:70], v[65:66], -v[57:58]
	v_add_f64 v[73:74], v[49:50], -v[53:54]
	;; [unrolled: 1-line block ×3, first 2 shown]
	v_add_f64 v[57:58], v[6:7], v[59:60]
	v_fma_f64 v[12:13], v[71:72], s[4:5], v[61:62]
	v_fma_f64 v[61:62], v[75:76], s[6:7], v[63:64]
	;; [unrolled: 1-line block ×3, first 2 shown]
	v_fma_f64 v[79:80], v[45:46], -0.5, v[6:7]
	v_add_f64 v[49:50], v[65:66], -v[49:50]
	v_fma_f64 v[6:7], v[77:78], -0.5, v[6:7]
	v_fma_f64 v[47:48], v[71:72], s[8:9], v[47:48]
	v_add_f64 v[57:58], v[57:58], v[67:68]
	v_fma_f64 v[45:46], v[35:36], s[14:15], v[12:13]
	v_fma_f64 v[12:13], v[71:72], s[16:17], v[61:62]
	;; [unrolled: 1-line block ×3, first 2 shown]
	v_add_f64 v[63:64], v[69:70], v[73:74]
	v_fma_f64 v[65:66], v[53:54], s[6:7], v[79:80]
	v_add_f64 v[69:70], v[59:60], -v[67:68]
	v_add_f64 v[71:72], v[55:56], -v[51:52]
	v_fma_f64 v[73:74], v[53:54], s[8:9], v[79:80]
	v_fma_f64 v[77:78], v[49:50], s[8:9], v[6:7]
	v_add_f64 v[59:60], v[67:68], -v[59:60]
	v_add_f64 v[67:68], v[51:52], -v[55:56]
	v_fma_f64 v[6:7], v[49:50], s[6:7], v[6:7]
	v_add_f64 v[51:52], v[57:58], v[51:52]
	v_fma_f64 v[47:48], v[75:76], s[16:17], v[47:48]
	v_fma_f64 v[65:66], v[49:50], s[16:17], v[65:66]
	v_add_f64 v[69:70], v[69:70], v[71:72]
	v_fma_f64 v[71:72], v[49:50], s[4:5], v[73:74]
	v_fma_f64 v[73:74], v[53:54], s[16:17], v[77:78]
	v_add_f64 v[59:60], v[59:60], v[67:68]
	v_fma_f64 v[67:68], v[53:54], s[4:5], v[6:7]
	v_add_f64 v[6:7], v[51:52], v[55:56]
	v_fma_f64 v[57:58], v[63:64], s[14:15], v[47:48]
	v_fma_f64 v[53:54], v[63:64], s[14:15], v[61:62]
	;; [unrolled: 1-line block ×4, first 2 shown]
	v_mov_b32_e32 v12, 4
	v_fma_f64 v[55:56], v[59:60], s[14:15], v[73:74]
	v_fma_f64 v[59:60], v[59:60], s[14:15], v[67:68]
	v_fma_f64 v[51:52], v[69:70], s[14:15], v[71:72]
	v_lshlrev_b32_sdwa v1, v12, v1 dst_sel:DWORD dst_unused:UNUSED_PAD src0_sel:DWORD src1_sel:BYTE_0
	v_add3_u32 v0, v0, v1, v40
	s_barrier
	ds_write_b128 v0, v[8:11]
	ds_write_b128 v0, v[15:18] offset:160
	ds_write_b128 v0, v[31:34] offset:320
	;; [unrolled: 1-line block ×4, first 2 shown]
	v_mad_u32_u24 v0, v3, s0, 0
	v_lshlrev_b32_sdwa v1, v12, v2 dst_sel:DWORD dst_unused:UNUSED_PAD src0_sel:DWORD src1_sel:BYTE_0
	v_add3_u32 v0, v0, v1, v40
	v_lshlrev_b32_e32 v1, 2, v24
	v_mov_b32_e32 v2, 0
	ds_write_b128 v0, v[4:7]
	ds_write_b128 v0, v[45:48] offset:160
	ds_write_b128 v0, v[53:56] offset:320
	;; [unrolled: 1-line block ×4, first 2 shown]
	v_lshlrev_b64 v[0:1], 4, v[1:2]
	v_mov_b32_e32 v11, s13
	v_add_co_u32_e64 v0, s[0:1], s12, v0
	v_addc_co_u32_e64 v1, s[0:1], v11, v1, s[0:1]
	s_waitcnt lgkmcnt(0)
	s_barrier
	global_load_dwordx4 v[3:6], v[0:1], off offset:640
	global_load_dwordx4 v[7:10], v[0:1], off offset:656
	;; [unrolled: 1-line block ×4, first 2 shown]
	v_lshlrev_b32_e32 v1, 2, v26
	v_lshlrev_b64 v[0:1], 4, v[1:2]
	v_add_co_u32_e64 v0, s[0:1], s12, v0
	v_addc_co_u32_e64 v1, s[0:1], v11, v1, s[0:1]
	global_load_dwordx4 v[31:34], v[0:1], off offset:640
	global_load_dwordx4 v[40:43], v[0:1], off offset:656
	;; [unrolled: 1-line block ×4, first 2 shown]
	ds_read_b128 v[52:55], v39 offset:800
	ds_read_b128 v[56:59], v39 offset:1600
	ds_read_b128 v[60:63], v38
	ds_read_b128 v[64:67], v39 offset:1200
	ds_read_b128 v[68:71], v39 offset:2400
	;; [unrolled: 1-line block ×3, first 2 shown]
	v_cmp_ne_u32_e64 s[0:1], 0, v24
	s_waitcnt vmcnt(7) lgkmcnt(5)
	v_mul_f64 v[0:1], v[54:55], v[5:6]
	v_mul_f64 v[5:6], v[52:53], v[5:6]
	s_waitcnt vmcnt(6) lgkmcnt(4)
	v_mul_f64 v[35:36], v[58:59], v[9:10]
	v_mul_f64 v[76:77], v[56:57], v[9:10]
	ds_read_b128 v[9:12], v39 offset:2800
	v_fma_f64 v[0:1], v[52:53], v[3:4], v[0:1]
	v_fma_f64 v[52:53], v[54:55], v[3:4], -v[5:6]
	s_waitcnt vmcnt(5) lgkmcnt(2)
	v_mul_f64 v[54:55], v[70:71], v[17:18]
	ds_read_b128 v[3:6], v39 offset:3200
	v_mul_f64 v[17:18], v[68:69], v[17:18]
	v_fma_f64 v[56:57], v[56:57], v[7:8], v[35:36]
	v_fma_f64 v[58:59], v[58:59], v[7:8], -v[76:77]
	s_waitcnt vmcnt(3)
	v_mul_f64 v[76:77], v[66:67], v[33:34]
	s_waitcnt lgkmcnt(0)
	v_mul_f64 v[7:8], v[5:6], v[29:30]
	v_mul_f64 v[29:30], v[3:4], v[29:30]
	v_fma_f64 v[54:55], v[68:69], v[15:16], v[54:55]
	v_fma_f64 v[68:69], v[70:71], v[15:16], -v[17:18]
	v_mul_f64 v[70:71], v[64:65], v[33:34]
	ds_read_b128 v[15:18], v14
	ds_read_b128 v[33:36], v39 offset:3600
	v_fma_f64 v[64:65], v[64:65], v[31:32], v[76:77]
	v_fma_f64 v[7:8], v[3:4], v[27:28], v[7:8]
	v_fma_f64 v[29:30], v[5:6], v[27:28], -v[29:30]
	s_waitcnt vmcnt(2)
	v_mul_f64 v[3:4], v[74:75], v[42:43]
	v_add_f64 v[5:6], v[60:61], v[0:1]
	v_add_f64 v[27:28], v[56:57], v[54:55]
	v_fma_f64 v[66:67], v[66:67], v[31:32], -v[70:71]
	v_mul_f64 v[31:32], v[72:73], v[42:43]
	s_waitcnt vmcnt(1)
	v_mul_f64 v[42:43], v[11:12], v[46:47]
	v_mul_f64 v[46:47], v[9:10], v[46:47]
	s_waitcnt vmcnt(0) lgkmcnt(0)
	v_mul_f64 v[70:71], v[35:36], v[50:51]
	v_fma_f64 v[72:73], v[72:73], v[40:41], v[3:4]
	v_add_f64 v[3:4], v[5:6], v[56:57]
	v_fma_f64 v[5:6], v[27:28], -0.5, v[60:61]
	v_add_f64 v[76:77], v[52:53], -v[29:30]
	v_fma_f64 v[74:75], v[74:75], v[40:41], -v[31:32]
	v_fma_f64 v[78:79], v[9:10], v[44:45], v[42:43]
	v_fma_f64 v[11:12], v[11:12], v[44:45], -v[46:47]
	v_fma_f64 v[46:47], v[33:34], v[48:49], v[70:71]
	v_mul_f64 v[27:28], v[33:34], v[50:51]
	v_add_f64 v[33:34], v[58:59], -v[68:69]
	v_add_f64 v[40:41], v[0:1], -v[56:57]
	v_fma_f64 v[31:32], v[76:77], s[8:9], v[5:6]
	v_add_f64 v[42:43], v[7:8], -v[54:55]
	v_fma_f64 v[5:6], v[76:77], s[6:7], v[5:6]
	v_add_f64 v[9:10], v[0:1], v[7:8]
	v_add_f64 v[3:4], v[3:4], v[54:55]
	v_fma_f64 v[35:36], v[35:36], v[48:49], -v[27:28]
	v_add_f64 v[27:28], v[62:63], v[52:53]
	v_add_f64 v[44:45], v[58:59], v[68:69]
	v_fma_f64 v[31:32], v[33:34], s[4:5], v[31:32]
	v_add_f64 v[40:41], v[40:41], v[42:43]
	v_fma_f64 v[5:6], v[33:34], s[16:17], v[5:6]
	v_fma_f64 v[9:10], v[9:10], -0.5, v[60:61]
	v_add_f64 v[48:49], v[56:57], -v[0:1]
	v_add_f64 v[50:51], v[54:55], -v[7:8]
	v_add_f64 v[3:4], v[3:4], v[7:8]
	v_add_f64 v[60:61], v[27:28], v[58:59]
	v_add_f64 v[0:1], v[0:1], -v[7:8]
	v_fma_f64 v[7:8], v[40:41], s[14:15], v[31:32]
	v_fma_f64 v[27:28], v[40:41], s[14:15], v[5:6]
	v_add_f64 v[40:41], v[52:53], v[29:30]
	v_fma_f64 v[42:43], v[33:34], s[6:7], v[9:10]
	v_fma_f64 v[44:45], v[44:45], -0.5, v[62:63]
	v_fma_f64 v[9:10], v[33:34], s[8:9], v[9:10]
	v_add_f64 v[33:34], v[48:49], v[50:51]
	v_add_f64 v[50:51], v[72:73], v[78:79]
	v_add_f64 v[5:6], v[60:61], v[68:69]
	v_add_f64 v[48:49], v[56:57], -v[54:55]
	v_add_f64 v[54:55], v[52:53], -v[58:59]
	;; [unrolled: 1-line block ×3, first 2 shown]
	v_fma_f64 v[40:41], v[40:41], -0.5, v[62:63]
	v_fma_f64 v[31:32], v[76:77], s[4:5], v[42:43]
	v_fma_f64 v[42:43], v[0:1], s[6:7], v[44:45]
	;; [unrolled: 1-line block ×3, first 2 shown]
	v_add_f64 v[60:61], v[15:16], v[64:65]
	v_fma_f64 v[50:51], v[50:51], -0.5, v[15:16]
	v_add_f64 v[62:63], v[66:67], -v[35:36]
	v_add_f64 v[5:6], v[5:6], v[29:30]
	v_add_f64 v[54:55], v[54:55], v[56:57]
	v_fma_f64 v[56:57], v[48:49], s[8:9], v[40:41]
	v_add_f64 v[52:53], v[58:59], -v[52:53]
	v_add_f64 v[29:30], v[68:69], -v[29:30]
	v_fma_f64 v[40:41], v[48:49], s[6:7], v[40:41]
	v_fma_f64 v[42:43], v[48:49], s[16:17], v[42:43]
	;; [unrolled: 1-line block ×3, first 2 shown]
	v_add_f64 v[48:49], v[60:61], v[72:73]
	v_fma_f64 v[58:59], v[62:63], s[8:9], v[50:51]
	v_add_f64 v[60:61], v[74:75], -v[11:12]
	v_add_f64 v[68:69], v[64:65], -v[72:73]
	v_add_f64 v[70:71], v[46:47], -v[78:79]
	v_fma_f64 v[9:10], v[76:77], s[16:17], v[9:10]
	v_fma_f64 v[56:57], v[0:1], s[16:17], v[56:57]
	v_add_f64 v[52:53], v[52:53], v[29:30]
	v_fma_f64 v[0:1], v[0:1], s[4:5], v[40:41]
	v_add_f64 v[29:30], v[64:65], v[46:47]
	;; [unrolled: 2-line block ×3, first 2 shown]
	v_add_f64 v[68:69], v[68:69], v[70:71]
	v_fma_f64 v[40:41], v[33:34], s[14:15], v[9:10]
	v_fma_f64 v[9:10], v[54:55], s[14:15], v[42:43]
	;; [unrolled: 1-line block ×4, first 2 shown]
	v_add_f64 v[0:1], v[74:75], v[11:12]
	v_fma_f64 v[70:71], v[29:30], -0.5, v[15:16]
	v_fma_f64 v[29:30], v[54:55], s[14:15], v[44:45]
	v_add_f64 v[54:55], v[66:67], v[35:36]
	v_fma_f64 v[33:34], v[52:53], s[14:15], v[56:57]
	v_fma_f64 v[44:45], v[68:69], s[14:15], v[58:59]
	v_add_f64 v[52:53], v[72:73], -v[64:65]
	v_add_f64 v[56:57], v[78:79], -v[46:47]
	v_add_f64 v[58:59], v[17:18], v[66:67]
	v_add_f64 v[15:16], v[48:49], v[46:47]
	v_fma_f64 v[48:49], v[62:63], s[6:7], v[50:51]
	v_add_f64 v[46:47], v[64:65], -v[46:47]
	v_fma_f64 v[0:1], v[0:1], -0.5, v[17:18]
	v_add_f64 v[64:65], v[72:73], -v[78:79]
	v_fma_f64 v[17:18], v[54:55], -0.5, v[17:18]
	v_add_f64 v[54:55], v[52:53], v[56:57]
	v_add_f64 v[56:57], v[58:59], v[74:75]
	v_fma_f64 v[50:51], v[60:61], s[6:7], v[70:71]
	v_fma_f64 v[48:49], v[60:61], s[16:17], v[48:49]
	;; [unrolled: 1-line block ×4, first 2 shown]
	v_add_f64 v[60:61], v[66:67], -v[74:75]
	v_add_f64 v[70:71], v[35:36], -v[11:12]
	v_fma_f64 v[0:1], v[46:47], s[8:9], v[0:1]
	v_fma_f64 v[72:73], v[64:65], s[8:9], v[17:18]
	v_add_f64 v[66:67], v[74:75], -v[66:67]
	v_add_f64 v[74:75], v[11:12], -v[35:36]
	v_fma_f64 v[17:18], v[64:65], s[6:7], v[17:18]
	v_add_f64 v[11:12], v[56:57], v[11:12]
	v_fma_f64 v[58:59], v[64:65], s[16:17], v[58:59]
	v_add_f64 v[60:61], v[60:61], v[70:71]
	v_fma_f64 v[50:51], v[62:63], s[4:5], v[50:51]
	v_fma_f64 v[62:63], v[62:63], s[16:17], v[52:53]
	;; [unrolled: 1-line block ×4, first 2 shown]
	v_add_f64 v[66:67], v[66:67], v[74:75]
	v_fma_f64 v[70:71], v[46:47], s[4:5], v[17:18]
	v_add_f64 v[17:18], v[11:12], v[35:36]
	v_fma_f64 v[46:47], v[60:61], s[14:15], v[58:59]
	v_fma_f64 v[52:53], v[54:55], s[14:15], v[50:51]
	;; [unrolled: 1-line block ×7, first 2 shown]
	s_barrier
	ds_write_b128 v39, v[3:6]
	ds_write_b128 v39, v[7:10] offset:800
	ds_write_b128 v39, v[31:34] offset:1600
	;; [unrolled: 1-line block ×4, first 2 shown]
	ds_write_b128 v14, v[15:18]
	ds_write_b128 v14, v[44:47] offset:800
	ds_write_b128 v14, v[52:55] offset:1600
	;; [unrolled: 1-line block ×4, first 2 shown]
	s_waitcnt lgkmcnt(0)
	s_barrier
	ds_read_b128 v[4:7], v38
	v_sub_u32_e32 v15, v37, v25
                                        ; implicit-def: $vgpr0_vgpr1
                                        ; implicit-def: $vgpr8_vgpr9
                                        ; implicit-def: $vgpr10_vgpr11
                                        ; implicit-def: $vgpr12_vgpr13
	s_and_saveexec_b64 s[4:5], s[0:1]
	s_xor_b64 s[4:5], exec, s[4:5]
	s_cbranch_execz .LBB0_14
; %bb.13:
	v_mov_b32_e32 v25, v2
	v_lshlrev_b64 v[0:1], 4, v[24:25]
	v_mov_b32_e32 v2, s13
	v_add_co_u32_e64 v0, s[0:1], s12, v0
	v_addc_co_u32_e64 v1, s[0:1], v2, v1, s[0:1]
	global_load_dwordx4 v[16:19], v[0:1], off offset:3840
	ds_read_b128 v[0:3], v15 offset:4000
	s_waitcnt lgkmcnt(0)
	v_add_f64 v[8:9], v[4:5], -v[0:1]
	v_add_f64 v[10:11], v[6:7], v[2:3]
	v_add_f64 v[2:3], v[6:7], -v[2:3]
	v_add_f64 v[0:1], v[4:5], v[0:1]
	v_mul_f64 v[6:7], v[8:9], 0.5
	v_mul_f64 v[4:5], v[10:11], 0.5
	;; [unrolled: 1-line block ×3, first 2 shown]
	s_waitcnt vmcnt(0)
	v_mul_f64 v[8:9], v[6:7], v[18:19]
	v_fma_f64 v[10:11], v[4:5], v[18:19], v[2:3]
	v_fma_f64 v[2:3], v[4:5], v[18:19], -v[2:3]
	v_fma_f64 v[12:13], v[0:1], 0.5, v[8:9]
	v_fma_f64 v[0:1], v[0:1], 0.5, -v[8:9]
	v_fma_f64 v[10:11], -v[16:17], v[6:7], v[10:11]
	v_fma_f64 v[2:3], -v[16:17], v[6:7], v[2:3]
	v_fma_f64 v[8:9], v[4:5], v[16:17], v[12:13]
	v_mov_b32_e32 v12, v24
	v_fma_f64 v[0:1], -v[4:5], v[16:17], v[0:1]
	v_mov_b32_e32 v13, v25
                                        ; implicit-def: $vgpr4_vgpr5
.LBB0_14:
	s_andn2_saveexec_b64 s[0:1], s[4:5]
	s_cbranch_execz .LBB0_16
; %bb.15:
	s_waitcnt lgkmcnt(0)
	v_add_f64 v[8:9], v[4:5], v[6:7]
	ds_read_b64 v[2:3], v37 offset:2008
	v_add_f64 v[0:1], v[4:5], -v[6:7]
	v_mov_b32_e32 v10, 0
	v_mov_b32_e32 v11, 0
	;; [unrolled: 1-line block ×3, first 2 shown]
	s_waitcnt lgkmcnt(0)
	v_xor_b32_e32 v3, 0x80000000, v3
	ds_write_b64 v37, v[2:3] offset:2008
	v_mov_b32_e32 v2, v10
	v_mov_b32_e32 v13, 0
	;; [unrolled: 1-line block ×3, first 2 shown]
.LBB0_16:
	s_or_b64 exec, exec, s[0:1]
	v_mov_b32_e32 v27, 0
	s_waitcnt lgkmcnt(0)
	v_lshlrev_b64 v[4:5], 4, v[26:27]
	v_mov_b32_e32 v6, s13
	v_add_co_u32_e64 v4, s[0:1], s12, v4
	v_addc_co_u32_e64 v5, s[0:1], v6, v5, s[0:1]
	global_load_dwordx4 v[4:7], v[4:5], off offset:3840
	s_add_u32 s0, s12, 0xf00
	v_lshlrev_b64 v[12:13], 4, v[12:13]
	s_addc_u32 s1, s13, 0
	v_mov_b32_e32 v16, s1
	v_add_co_u32_e64 v12, s[0:1], s0, v12
	v_addc_co_u32_e64 v13, s[0:1], v16, v13, s[0:1]
	global_load_dwordx4 v[16:19], v[12:13], off offset:800
	ds_write2_b64 v38, v[8:9], v[10:11] offset1:1
	ds_write_b128 v15, v[0:3] offset:4000
	ds_read_b128 v[0:3], v14
	ds_read_b128 v[8:11], v15 offset:3600
	s_waitcnt lgkmcnt(0)
	v_add_f64 v[25:26], v[0:1], -v[8:9]
	v_add_f64 v[28:29], v[2:3], v[10:11]
	v_add_f64 v[2:3], v[2:3], -v[10:11]
	v_add_f64 v[0:1], v[0:1], v[8:9]
	v_mul_f64 v[10:11], v[25:26], 0.5
	v_mul_f64 v[25:26], v[28:29], 0.5
	;; [unrolled: 1-line block ×3, first 2 shown]
	s_waitcnt vmcnt(1)
	v_mul_f64 v[8:9], v[10:11], v[6:7]
	v_fma_f64 v[28:29], v[25:26], v[6:7], v[2:3]
	v_fma_f64 v[6:7], v[25:26], v[6:7], -v[2:3]
	v_fma_f64 v[30:31], v[0:1], 0.5, v[8:9]
	v_fma_f64 v[8:9], v[0:1], 0.5, -v[8:9]
	global_load_dwordx4 v[0:3], v[12:13], off offset:1200
	v_fma_f64 v[28:29], -v[4:5], v[10:11], v[28:29]
	v_fma_f64 v[6:7], -v[4:5], v[10:11], v[6:7]
	v_fma_f64 v[10:11], v[25:26], v[4:5], v[30:31]
	v_fma_f64 v[4:5], -v[25:26], v[4:5], v[8:9]
	ds_write2_b64 v14, v[10:11], v[28:29] offset1:1
	ds_write_b128 v15, v[4:7] offset:3600
	ds_read_b128 v[4:7], v38 offset:800
	ds_read_b128 v[8:11], v15 offset:3200
	s_waitcnt lgkmcnt(0)
	v_add_f64 v[25:26], v[4:5], -v[8:9]
	v_add_f64 v[28:29], v[6:7], v[10:11]
	v_add_f64 v[6:7], v[6:7], -v[10:11]
	v_add_f64 v[4:5], v[4:5], v[8:9]
	v_mul_f64 v[10:11], v[25:26], 0.5
	v_mul_f64 v[25:26], v[28:29], 0.5
	;; [unrolled: 1-line block ×3, first 2 shown]
	s_waitcnt vmcnt(1)
	v_mul_f64 v[8:9], v[10:11], v[18:19]
	v_fma_f64 v[28:29], v[25:26], v[18:19], v[6:7]
	v_fma_f64 v[18:19], v[25:26], v[18:19], -v[6:7]
	v_fma_f64 v[30:31], v[4:5], 0.5, v[8:9]
	v_fma_f64 v[8:9], v[4:5], 0.5, -v[8:9]
	global_load_dwordx4 v[4:7], v[12:13], off offset:1600
	v_fma_f64 v[12:13], -v[16:17], v[10:11], v[28:29]
	v_fma_f64 v[10:11], -v[16:17], v[10:11], v[18:19]
	v_fma_f64 v[18:19], v[25:26], v[16:17], v[30:31]
	v_fma_f64 v[8:9], -v[25:26], v[16:17], v[8:9]
	ds_write2_b64 v38, v[18:19], v[12:13] offset0:100 offset1:101
	ds_write_b128 v15, v[8:11] offset:3200
	ds_read_b128 v[8:11], v38 offset:1200
	ds_read_b128 v[16:19], v15 offset:2800
	s_waitcnt lgkmcnt(0)
	v_add_f64 v[12:13], v[8:9], -v[16:17]
	v_add_f64 v[25:26], v[10:11], v[18:19]
	v_add_f64 v[10:11], v[10:11], -v[18:19]
	v_add_f64 v[8:9], v[8:9], v[16:17]
	v_mul_f64 v[12:13], v[12:13], 0.5
	v_mul_f64 v[18:19], v[25:26], 0.5
	;; [unrolled: 1-line block ×3, first 2 shown]
	s_waitcnt vmcnt(1)
	v_mul_f64 v[16:17], v[12:13], v[2:3]
	v_fma_f64 v[25:26], v[18:19], v[2:3], v[10:11]
	v_fma_f64 v[2:3], v[18:19], v[2:3], -v[10:11]
	v_fma_f64 v[10:11], v[8:9], 0.5, v[16:17]
	v_fma_f64 v[8:9], v[8:9], 0.5, -v[16:17]
	v_fma_f64 v[16:17], -v[0:1], v[12:13], v[25:26]
	v_fma_f64 v[2:3], -v[0:1], v[12:13], v[2:3]
	v_fma_f64 v[10:11], v[18:19], v[0:1], v[10:11]
	v_fma_f64 v[0:1], -v[18:19], v[0:1], v[8:9]
	ds_write2_b64 v38, v[10:11], v[16:17] offset0:150 offset1:151
	ds_write_b128 v15, v[0:3] offset:2800
	ds_read_b128 v[0:3], v38 offset:1600
	ds_read_b128 v[8:11], v15 offset:2400
	s_waitcnt lgkmcnt(0)
	v_add_f64 v[12:13], v[0:1], -v[8:9]
	v_add_f64 v[16:17], v[2:3], v[10:11]
	v_add_f64 v[2:3], v[2:3], -v[10:11]
	v_add_f64 v[0:1], v[0:1], v[8:9]
	v_mul_f64 v[10:11], v[12:13], 0.5
	v_mul_f64 v[12:13], v[16:17], 0.5
	;; [unrolled: 1-line block ×3, first 2 shown]
	s_waitcnt vmcnt(0)
	v_mul_f64 v[8:9], v[10:11], v[6:7]
	v_fma_f64 v[16:17], v[12:13], v[6:7], v[2:3]
	v_fma_f64 v[2:3], v[12:13], v[6:7], -v[2:3]
	v_fma_f64 v[6:7], v[0:1], 0.5, v[8:9]
	v_fma_f64 v[0:1], v[0:1], 0.5, -v[8:9]
	v_fma_f64 v[8:9], -v[4:5], v[10:11], v[16:17]
	v_fma_f64 v[2:3], -v[4:5], v[10:11], v[2:3]
	v_fma_f64 v[6:7], v[12:13], v[4:5], v[6:7]
	v_fma_f64 v[0:1], -v[12:13], v[4:5], v[0:1]
	ds_write2_b64 v38, v[6:7], v[8:9] offset0:200 offset1:201
	ds_write_b128 v15, v[0:3] offset:2400
	s_waitcnt lgkmcnt(0)
	s_barrier
	s_and_saveexec_b64 s[0:1], vcc
	s_cbranch_execz .LBB0_19
; %bb.17:
	v_mul_lo_u32 v2, s3, v22
	v_mul_lo_u32 v3, s2, v23
	v_mad_u64_u32 v[0:1], s[0:1], s2, v22, 0
	v_mov_b32_e32 v7, s11
	v_mov_b32_e32 v25, v27
	v_add3_u32 v1, v1, v3, v2
	v_lshlrev_b64 v[0:1], 4, v[0:1]
	v_lshl_add_u32 v2, v24, 4, v37
	v_add_co_u32_e32 v8, vcc, s10, v0
	v_addc_co_u32_e32 v7, vcc, v7, v1, vcc
	v_lshlrev_b64 v[0:1], 4, v[20:21]
	ds_read_b128 v[3:6], v2
	v_add_co_u32_e32 v0, vcc, v8, v0
	v_addc_co_u32_e32 v1, vcc, v7, v1, vcc
	v_lshlrev_b64 v[7:8], 4, v[24:25]
	v_add_u32_e32 v26, 25, v24
	v_add_co_u32_e32 v11, vcc, v0, v7
	v_addc_co_u32_e32 v12, vcc, v1, v8, vcc
	ds_read_b128 v[7:10], v2 offset:400
	s_waitcnt lgkmcnt(1)
	global_store_dwordx4 v[11:12], v[3:6], off
	s_nop 0
	v_lshlrev_b64 v[3:4], 4, v[26:27]
	v_add_u32_e32 v26, 50, v24
	v_add_co_u32_e32 v3, vcc, v0, v3
	v_addc_co_u32_e32 v4, vcc, v1, v4, vcc
	s_waitcnt lgkmcnt(0)
	global_store_dwordx4 v[3:4], v[7:10], off
	ds_read_b128 v[3:6], v2 offset:800
	v_lshlrev_b64 v[7:8], 4, v[26:27]
	v_add_u32_e32 v26, 0x4b, v24
	v_add_co_u32_e32 v11, vcc, v0, v7
	v_addc_co_u32_e32 v12, vcc, v1, v8, vcc
	ds_read_b128 v[7:10], v2 offset:1200
	s_waitcnt lgkmcnt(1)
	global_store_dwordx4 v[11:12], v[3:6], off
	s_nop 0
	v_lshlrev_b64 v[3:4], 4, v[26:27]
	v_add_u32_e32 v26, 0x64, v24
	v_add_co_u32_e32 v3, vcc, v0, v3
	v_addc_co_u32_e32 v4, vcc, v1, v4, vcc
	s_waitcnt lgkmcnt(0)
	global_store_dwordx4 v[3:4], v[7:10], off
	ds_read_b128 v[3:6], v2 offset:1600
	;; [unrolled: 15-line block ×4, first 2 shown]
	v_lshlrev_b64 v[7:8], 4, v[26:27]
	v_add_u32_e32 v26, 0xe1, v24
	v_add_co_u32_e32 v11, vcc, v0, v7
	v_addc_co_u32_e32 v12, vcc, v1, v8, vcc
	ds_read_b128 v[7:10], v2 offset:3600
	s_waitcnt lgkmcnt(1)
	global_store_dwordx4 v[11:12], v[3:6], off
	s_nop 0
	v_lshlrev_b64 v[3:4], 4, v[26:27]
	v_add_co_u32_e32 v3, vcc, v0, v3
	v_addc_co_u32_e32 v4, vcc, v1, v4, vcc
	v_cmp_eq_u32_e32 vcc, 24, v24
	s_waitcnt lgkmcnt(0)
	global_store_dwordx4 v[3:4], v[7:10], off
	s_and_b64 exec, exec, vcc
	s_cbranch_execz .LBB0_19
; %bb.18:
	ds_read_b128 v[2:5], v2 offset:3616
	s_waitcnt lgkmcnt(0)
	global_store_dwordx4 v[0:1], v[2:5], off offset:4000
.LBB0_19:
	s_endpgm
	.section	.rodata,"a",@progbits
	.p2align	6, 0x0
	.amdhsa_kernel fft_rtc_back_len250_factors_10_5_5_wgs_125_tpt_25_halfLds_dp_op_CI_CI_unitstride_sbrr_R2C_dirReg
		.amdhsa_group_segment_fixed_size 0
		.amdhsa_private_segment_fixed_size 0
		.amdhsa_kernarg_size 104
		.amdhsa_user_sgpr_count 6
		.amdhsa_user_sgpr_private_segment_buffer 1
		.amdhsa_user_sgpr_dispatch_ptr 0
		.amdhsa_user_sgpr_queue_ptr 0
		.amdhsa_user_sgpr_kernarg_segment_ptr 1
		.amdhsa_user_sgpr_dispatch_id 0
		.amdhsa_user_sgpr_flat_scratch_init 0
		.amdhsa_user_sgpr_private_segment_size 0
		.amdhsa_uses_dynamic_stack 0
		.amdhsa_system_sgpr_private_segment_wavefront_offset 0
		.amdhsa_system_sgpr_workgroup_id_x 1
		.amdhsa_system_sgpr_workgroup_id_y 0
		.amdhsa_system_sgpr_workgroup_id_z 0
		.amdhsa_system_sgpr_workgroup_info 0
		.amdhsa_system_vgpr_workitem_id 0
		.amdhsa_next_free_vgpr 81
		.amdhsa_next_free_sgpr 28
		.amdhsa_reserve_vcc 1
		.amdhsa_reserve_flat_scratch 0
		.amdhsa_float_round_mode_32 0
		.amdhsa_float_round_mode_16_64 0
		.amdhsa_float_denorm_mode_32 3
		.amdhsa_float_denorm_mode_16_64 3
		.amdhsa_dx10_clamp 1
		.amdhsa_ieee_mode 1
		.amdhsa_fp16_overflow 0
		.amdhsa_exception_fp_ieee_invalid_op 0
		.amdhsa_exception_fp_denorm_src 0
		.amdhsa_exception_fp_ieee_div_zero 0
		.amdhsa_exception_fp_ieee_overflow 0
		.amdhsa_exception_fp_ieee_underflow 0
		.amdhsa_exception_fp_ieee_inexact 0
		.amdhsa_exception_int_div_zero 0
	.end_amdhsa_kernel
	.text
.Lfunc_end0:
	.size	fft_rtc_back_len250_factors_10_5_5_wgs_125_tpt_25_halfLds_dp_op_CI_CI_unitstride_sbrr_R2C_dirReg, .Lfunc_end0-fft_rtc_back_len250_factors_10_5_5_wgs_125_tpt_25_halfLds_dp_op_CI_CI_unitstride_sbrr_R2C_dirReg
                                        ; -- End function
	.section	.AMDGPU.csdata,"",@progbits
; Kernel info:
; codeLenInByte = 7840
; NumSgprs: 32
; NumVgprs: 81
; ScratchSize: 0
; MemoryBound: 0
; FloatMode: 240
; IeeeMode: 1
; LDSByteSize: 0 bytes/workgroup (compile time only)
; SGPRBlocks: 3
; VGPRBlocks: 20
; NumSGPRsForWavesPerEU: 32
; NumVGPRsForWavesPerEU: 81
; Occupancy: 3
; WaveLimiterHint : 1
; COMPUTE_PGM_RSRC2:SCRATCH_EN: 0
; COMPUTE_PGM_RSRC2:USER_SGPR: 6
; COMPUTE_PGM_RSRC2:TRAP_HANDLER: 0
; COMPUTE_PGM_RSRC2:TGID_X_EN: 1
; COMPUTE_PGM_RSRC2:TGID_Y_EN: 0
; COMPUTE_PGM_RSRC2:TGID_Z_EN: 0
; COMPUTE_PGM_RSRC2:TIDIG_COMP_CNT: 0
	.type	__hip_cuid_455089516defde06,@object ; @__hip_cuid_455089516defde06
	.section	.bss,"aw",@nobits
	.globl	__hip_cuid_455089516defde06
__hip_cuid_455089516defde06:
	.byte	0                               ; 0x0
	.size	__hip_cuid_455089516defde06, 1

	.ident	"AMD clang version 19.0.0git (https://github.com/RadeonOpenCompute/llvm-project roc-6.4.0 25133 c7fe45cf4b819c5991fe208aaa96edf142730f1d)"
	.section	".note.GNU-stack","",@progbits
	.addrsig
	.addrsig_sym __hip_cuid_455089516defde06
	.amdgpu_metadata
---
amdhsa.kernels:
  - .args:
      - .actual_access:  read_only
        .address_space:  global
        .offset:         0
        .size:           8
        .value_kind:     global_buffer
      - .offset:         8
        .size:           8
        .value_kind:     by_value
      - .actual_access:  read_only
        .address_space:  global
        .offset:         16
        .size:           8
        .value_kind:     global_buffer
      - .actual_access:  read_only
        .address_space:  global
        .offset:         24
        .size:           8
        .value_kind:     global_buffer
      - .actual_access:  read_only
        .address_space:  global
        .offset:         32
        .size:           8
        .value_kind:     global_buffer
      - .offset:         40
        .size:           8
        .value_kind:     by_value
      - .actual_access:  read_only
        .address_space:  global
        .offset:         48
        .size:           8
        .value_kind:     global_buffer
      - .actual_access:  read_only
        .address_space:  global
        .offset:         56
        .size:           8
        .value_kind:     global_buffer
      - .offset:         64
        .size:           4
        .value_kind:     by_value
      - .actual_access:  read_only
        .address_space:  global
        .offset:         72
        .size:           8
        .value_kind:     global_buffer
      - .actual_access:  read_only
        .address_space:  global
        .offset:         80
        .size:           8
        .value_kind:     global_buffer
      - .actual_access:  read_only
        .address_space:  global
        .offset:         88
        .size:           8
        .value_kind:     global_buffer
      - .actual_access:  write_only
        .address_space:  global
        .offset:         96
        .size:           8
        .value_kind:     global_buffer
    .group_segment_fixed_size: 0
    .kernarg_segment_align: 8
    .kernarg_segment_size: 104
    .language:       OpenCL C
    .language_version:
      - 2
      - 0
    .max_flat_workgroup_size: 125
    .name:           fft_rtc_back_len250_factors_10_5_5_wgs_125_tpt_25_halfLds_dp_op_CI_CI_unitstride_sbrr_R2C_dirReg
    .private_segment_fixed_size: 0
    .sgpr_count:     32
    .sgpr_spill_count: 0
    .symbol:         fft_rtc_back_len250_factors_10_5_5_wgs_125_tpt_25_halfLds_dp_op_CI_CI_unitstride_sbrr_R2C_dirReg.kd
    .uniform_work_group_size: 1
    .uses_dynamic_stack: false
    .vgpr_count:     81
    .vgpr_spill_count: 0
    .wavefront_size: 64
amdhsa.target:   amdgcn-amd-amdhsa--gfx906
amdhsa.version:
  - 1
  - 2
...

	.end_amdgpu_metadata
